;; amdgpu-corpus repo=ROCm/rocFFT kind=compiled arch=gfx1201 opt=O3
	.text
	.amdgcn_target "amdgcn-amd-amdhsa--gfx1201"
	.amdhsa_code_object_version 6
	.protected	bluestein_single_back_len98_dim1_sp_op_CI_CI ; -- Begin function bluestein_single_back_len98_dim1_sp_op_CI_CI
	.globl	bluestein_single_back_len98_dim1_sp_op_CI_CI
	.p2align	8
	.type	bluestein_single_back_len98_dim1_sp_op_CI_CI,@function
bluestein_single_back_len98_dim1_sp_op_CI_CI: ; @bluestein_single_back_len98_dim1_sp_op_CI_CI
; %bb.0:
	s_load_b128 s[8:11], s[0:1], 0x28
	v_mul_u32_u24_e32 v1, 0x124a, v0
	s_mov_b32 s2, exec_lo
	s_delay_alu instid0(VALU_DEP_1) | instskip(NEXT) | instid1(VALU_DEP_1)
	v_lshrrev_b32_e32 v1, 16, v1
	v_mad_co_u64_u32 v[40:41], null, ttmp9, 18, v[1:2]
	v_mov_b32_e32 v41, 0
	s_wait_kmcnt 0x0
	s_delay_alu instid0(VALU_DEP_1)
	v_cmpx_gt_u64_e64 s[8:9], v[40:41]
	s_cbranch_execz .LBB0_15
; %bb.1:
	s_clause 0x1
	s_load_b128 s[4:7], s[0:1], 0x18
	s_load_b64 s[16:17], s[0:1], 0x0
	v_mul_lo_u16 v1, v1, 14
	v_mul_hi_u32 v14, 0x38e38e39, v40
	s_movk_i32 s2, 0xffdd
	s_mov_b32 s3, -1
	s_delay_alu instid0(VALU_DEP_2) | instskip(NEXT) | instid1(VALU_DEP_2)
	v_sub_nc_u16 v19, v0, v1
	v_lshrrev_b32_e32 v14, 2, v14
	s_delay_alu instid0(VALU_DEP_2) | instskip(NEXT) | instid1(VALU_DEP_2)
	v_and_b32_e32 v55, 0xffff, v19
	v_mul_lo_u32 v14, v14, 18
	s_wait_kmcnt 0x0
	s_load_b128 s[12:15], s[4:5], 0x0
	s_delay_alu instid0(VALU_DEP_1) | instskip(NEXT) | instid1(VALU_DEP_1)
	v_sub_nc_u32_e32 v14, v40, v14
	v_mul_u32_u24_e32 v14, 0x62, v14
	s_delay_alu instid0(VALU_DEP_1)
	v_lshlrev_b32_e32 v16, 3, v14
	s_wait_kmcnt 0x0
	v_mad_co_u64_u32 v[0:1], null, s14, v40, 0
	v_mad_co_u64_u32 v[2:3], null, s12, v55, 0
	s_mul_u64 s[4:5], s[12:13], 49
	s_mul_u64 s[2:3], s[12:13], s[2:3]
	s_delay_alu instid0(SALU_CYCLE_1) | instskip(NEXT) | instid1(VALU_DEP_1)
	s_lshl_b64 s[2:3], s[2:3], 3
	v_mad_co_u64_u32 v[4:5], null, s15, v40, v[1:2]
	s_delay_alu instid0(VALU_DEP_1) | instskip(NEXT) | instid1(VALU_DEP_3)
	v_dual_mov_b32 v1, v4 :: v_dual_lshlrev_b32 v28, 3, v55
	v_mad_co_u64_u32 v[5:6], null, s13, v55, v[3:4]
	s_clause 0x2
	global_load_b64 v[45:46], v28, s[16:17] offset:392
	global_load_b64 v[49:50], v28, s[16:17]
	global_load_b64 v[47:48], v28, s[16:17] offset:112
	v_lshlrev_b64_e32 v[0:1], 3, v[0:1]
	global_load_b64 v[43:44], v28, s[16:17] offset:504
	v_add_co_u32 v41, s12, s16, v28
	v_mov_b32_e32 v3, v5
	s_wait_alu 0xf1ff
	v_add_co_ci_u32_e64 v42, null, s17, 0, s12
	v_add_co_u32 v0, vcc_lo, s10, v0
	s_delay_alu instid0(VALU_DEP_3) | instskip(SKIP_2) | instid1(VALU_DEP_2)
	v_lshlrev_b64_e32 v[2:3], 3, v[2:3]
	v_add_co_ci_u32_e32 v1, vcc_lo, s11, v1, vcc_lo
	s_lshl_b64 s[10:11], s[4:5], 3
	v_add_co_u32 v0, vcc_lo, v0, v2
	s_wait_alu 0xfffd
	s_delay_alu instid0(VALU_DEP_2) | instskip(SKIP_1) | instid1(VALU_DEP_2)
	v_add_co_ci_u32_e32 v1, vcc_lo, v1, v3, vcc_lo
	s_wait_alu 0xfffe
	v_add_co_u32 v2, vcc_lo, v0, s10
	s_wait_alu 0xfffd
	s_delay_alu instid0(VALU_DEP_2)
	v_add_co_ci_u32_e32 v3, vcc_lo, s11, v1, vcc_lo
	global_load_b64 v[4:5], v[0:1], off
	v_add_co_u32 v0, vcc_lo, v2, s2
	s_wait_alu 0xfffd
	v_add_co_ci_u32_e32 v1, vcc_lo, s3, v3, vcc_lo
	s_clause 0x1
	global_load_b64 v[2:3], v[2:3], off
	global_load_b64 v[8:9], v[0:1], off
	v_add_co_u32 v6, vcc_lo, v0, s10
	s_wait_alu 0xfffd
	v_add_co_ci_u32_e32 v7, vcc_lo, s11, v1, vcc_lo
	v_add_nc_u32_e32 v56, v28, v16
	s_delay_alu instid0(VALU_DEP_3) | instskip(SKIP_1) | instid1(VALU_DEP_3)
	v_add_co_u32 v10, vcc_lo, v6, s2
	s_wait_alu 0xfffd
	v_add_co_ci_u32_e32 v11, vcc_lo, s3, v7, vcc_lo
	global_load_b64 v[6:7], v[6:7], off
	v_add_co_u32 v0, vcc_lo, v10, s10
	s_wait_alu 0xfffd
	v_add_co_ci_u32_e32 v1, vcc_lo, s11, v11, vcc_lo
	global_load_b64 v[51:52], v28, s[16:17] offset:224
	global_load_b64 v[10:11], v[10:11], off
	global_load_b64 v[53:54], v28, s[16:17] offset:616
	global_load_b64 v[12:13], v[0:1], off
	s_load_b64 s[8:9], s[0:1], 0x38
	s_load_b128 s[4:7], s[6:7], 0x0
	v_cmp_gt_u16_e32 vcc_lo, 7, v19
	s_wait_loadcnt 0x7
	v_mul_f32_e32 v14, v5, v50
	v_mul_f32_e32 v15, v4, v50
	s_wait_loadcnt 0x5
	s_delay_alu instid0(VALU_DEP_2) | instskip(SKIP_2) | instid1(VALU_DEP_2)
	v_dual_fmac_f32 v14, v4, v49 :: v_dual_mul_f32 v17, v9, v48
	v_mul_f32_e32 v4, v3, v46
	v_mul_f32_e32 v18, v8, v48
	v_dual_fmac_f32 v17, v8, v47 :: v_dual_fmac_f32 v4, v2, v45
	v_fma_f32 v15, v5, v49, -v15
	v_mul_f32_e32 v5, v2, v46
	s_delay_alu instid0(VALU_DEP_4) | instskip(SKIP_2) | instid1(VALU_DEP_3)
	v_fma_f32 v18, v9, v47, -v18
	s_wait_loadcnt 0x4
	v_mul_f32_e32 v2, v7, v44
	v_fma_f32 v5, v3, v45, -v5
	s_wait_loadcnt 0x0
	v_dual_mul_f32 v3, v6, v44 :: v_dual_mul_f32 v8, v13, v54
	s_delay_alu instid0(VALU_DEP_3) | instskip(SKIP_2) | instid1(VALU_DEP_4)
	v_fmac_f32_e32 v2, v6, v43
	v_mul_f32_e32 v6, v11, v52
	v_dual_mul_f32 v9, v10, v52 :: v_dual_mul_f32 v20, v12, v54
	v_fma_f32 v3, v7, v43, -v3
	v_fmac_f32_e32 v8, v12, v53
	s_delay_alu instid0(VALU_DEP_4) | instskip(NEXT) | instid1(VALU_DEP_4)
	v_fmac_f32_e32 v6, v10, v51
	v_fma_f32 v7, v11, v51, -v9
	v_fma_f32 v9, v13, v53, -v20
	ds_store_b64 v56, v[4:5] offset:392
	ds_store_2addr_b64 v56, v[14:15], v[17:18] offset1:14
	ds_store_b64 v56, v[6:7] offset:224
	ds_store_2addr_b64 v56, v[2:3], v[8:9] offset0:63 offset1:77
	s_and_saveexec_b32 s12, vcc_lo
	s_cbranch_execz .LBB0_3
; %bb.2:
	v_add_co_u32 v0, s2, v0, s2
	s_wait_alu 0xf1ff
	v_add_co_ci_u32_e64 v1, s2, s3, v1, s2
	s_delay_alu instid0(VALU_DEP_2) | instskip(SKIP_1) | instid1(VALU_DEP_2)
	v_add_co_u32 v2, s2, v0, s10
	s_wait_alu 0xf1ff
	v_add_co_ci_u32_e64 v3, s2, s11, v1, s2
	global_load_b64 v[0:1], v[0:1], off
	s_clause 0x1
	global_load_b64 v[4:5], v[41:42], off offset:336
	global_load_b64 v[6:7], v[41:42], off offset:728
	global_load_b64 v[2:3], v[2:3], off
	s_wait_loadcnt 0x2
	v_mul_f32_e32 v8, v1, v5
	v_mul_f32_e32 v9, v0, v5
	s_wait_loadcnt 0x0
	v_mul_f32_e32 v5, v3, v7
	s_delay_alu instid0(VALU_DEP_3) | instskip(NEXT) | instid1(VALU_DEP_3)
	v_dual_mul_f32 v7, v2, v7 :: v_dual_fmac_f32 v8, v0, v4
	v_fma_f32 v9, v1, v4, -v9
	s_delay_alu instid0(VALU_DEP_3) | instskip(NEXT) | instid1(VALU_DEP_3)
	v_fmac_f32_e32 v5, v2, v6
	v_fma_f32 v6, v3, v6, -v7
	ds_store_2addr_b64 v56, v[8:9], v[5:6] offset0:42 offset1:91
.LBB0_3:
	s_wait_alu 0xfffe
	s_or_b32 exec_lo, exec_lo, s12
	global_wb scope:SCOPE_SE
	s_wait_dscnt 0x0
	s_wait_kmcnt 0x0
	s_barrier_signal -1
	s_barrier_wait -1
	global_inv scope:SCOPE_SE
	ds_load_2addr_b64 v[4:7], v56 offset1:14
	ds_load_2addr_b64 v[8:11], v56 offset0:28 offset1:49
	ds_load_2addr_b64 v[12:15], v56 offset0:63 offset1:77
	s_load_b64 s[0:1], s[0:1], 0x8
                                        ; implicit-def: $vgpr2
	s_and_saveexec_b32 s2, vcc_lo
	s_cbranch_execz .LBB0_5
; %bb.4:
	ds_load_2addr_b64 v[0:3], v56 offset0:42 offset1:91
.LBB0_5:
	s_wait_alu 0xfffe
	s_or_b32 exec_lo, exec_lo, s2
	s_wait_dscnt 0x1
	v_dual_sub_f32 v19, v4, v10 :: v_dual_sub_f32 v20, v5, v11
	v_add_co_u32 v25, null, v55, 42
	s_wait_dscnt 0x0
	v_dual_sub_f32 v12, v6, v12 :: v_dual_sub_f32 v13, v7, v13
	s_delay_alu instid0(VALU_DEP_3) | instskip(SKIP_4) | instid1(VALU_DEP_4)
	v_fma_f32 v17, v4, 2.0, -v19
	v_lshlrev_b16 v4, 1, v55
	v_dual_sub_f32 v23, v8, v14 :: v_dual_sub_f32 v24, v9, v15
	v_fma_f32 v18, v5, 2.0, -v20
	v_sub_f32_e32 v14, v0, v2
	v_dual_sub_f32 v15, v1, v3 :: v_dual_and_b32 v4, 0xffff, v4
	v_lshl_add_u32 v60, v55, 4, v16
	v_lshl_add_u32 v57, v25, 4, v16
	v_fma_f32 v10, v6, 2.0, -v12
	s_delay_alu instid0(VALU_DEP_4)
	v_lshl_add_u32 v58, v4, 3, v16
	v_fma_f32 v11, v7, 2.0, -v13
	v_fma_f32 v21, v8, 2.0, -v23
	;; [unrolled: 1-line block ×3, first 2 shown]
	global_wb scope:SCOPE_SE
	s_wait_kmcnt 0x0
	s_barrier_signal -1
	s_barrier_wait -1
	global_inv scope:SCOPE_SE
	ds_store_b128 v58, v[17:20]
	ds_store_b128 v60, v[10:13] offset:224
	ds_store_b128 v60, v[21:24] offset:448
	s_and_saveexec_b32 s2, vcc_lo
	s_cbranch_execz .LBB0_7
; %bb.6:
	v_fma_f32 v13, v1, 2.0, -v15
	v_fma_f32 v12, v0, 2.0, -v14
	ds_store_b128 v57, v[12:15]
.LBB0_7:
	s_wait_alu 0xfffe
	s_or_b32 exec_lo, exec_lo, s2
	v_and_b32_e32 v25, 1, v55
	global_wb scope:SCOPE_SE
	s_wait_dscnt 0x0
	s_barrier_signal -1
	s_barrier_wait -1
	global_inv scope:SCOPE_SE
	v_mul_u32_u24_e32 v0, 6, v25
	v_lshrrev_b32_e32 v12, 1, v55
	v_mad_co_u64_u32 v[33:34], null, v55, 48, s[0:1]
	s_delay_alu instid0(VALU_DEP_3) | instskip(NEXT) | instid1(VALU_DEP_3)
	v_lshlrev_b32_e32 v0, 3, v0
	v_mul_u32_u24_e32 v26, 14, v12
	s_clause 0x2
	global_load_b128 v[8:11], v0, s[0:1]
	global_load_b128 v[4:7], v0, s[0:1] offset:16
	global_load_b128 v[0:3], v0, s[0:1] offset:32
	ds_load_2addr_b64 v[17:20], v56 offset1:14
	ds_load_2addr_b64 v[21:24], v56 offset0:28 offset1:42
	ds_load_2addr_b64 v[29:32], v56 offset0:56 offset1:70
	ds_load_b64 v[12:13], v56 offset:672
	v_or_b32_e32 v25, v26, v25
	global_wb scope:SCOPE_SE
	s_wait_loadcnt_dscnt 0x0
	s_barrier_signal -1
	s_barrier_wait -1
	global_inv scope:SCOPE_SE
	v_lshl_add_u32 v59, v25, 3, v16
	s_add_nc_u64 s[0:1], s[16:17], 0x310
	v_mul_f32_e32 v25, v19, v9
	v_mul_f32_e32 v16, v20, v9
	v_dual_mul_f32 v26, v22, v11 :: v_dual_mul_f32 v35, v24, v5
	v_dual_mul_f32 v38, v29, v7 :: v_dual_mul_f32 v39, v32, v1
	;; [unrolled: 1-line block ×3, first 2 shown]
	s_delay_alu instid0(VALU_DEP_2)
	v_dual_mul_f32 v63, v12, v3 :: v_dual_fmac_f32 v38, v30, v6
	v_dual_mul_f32 v27, v21, v11 :: v_dual_mul_f32 v36, v23, v5
	v_mul_f32_e32 v37, v30, v7
	v_fma_f32 v16, v19, v8, -v16
	v_fma_f32 v19, v21, v10, -v26
	;; [unrolled: 1-line block ×3, first 2 shown]
	v_dual_fmac_f32 v36, v24, v4 :: v_dual_fmac_f32 v63, v13, v2
	v_fma_f32 v13, v31, v0, -v39
	v_fmac_f32_e32 v25, v20, v8
	s_delay_alu instid0(VALU_DEP_4)
	v_dual_fmac_f32 v27, v22, v10 :: v_dual_add_f32 v22, v16, v12
	v_fma_f32 v20, v23, v4, -v35
	v_fma_f32 v21, v29, v6, -v37
	v_dual_add_f32 v24, v19, v13 :: v_dual_fmac_f32 v61, v32, v0
	v_sub_f32_e32 v12, v16, v12
	v_sub_f32_e32 v16, v25, v63
	s_delay_alu instid0(VALU_DEP_4) | instskip(NEXT) | instid1(VALU_DEP_4)
	v_dual_add_f32 v23, v25, v63 :: v_dual_add_f32 v26, v20, v21
	v_dual_add_f32 v25, v27, v61 :: v_dual_sub_f32 v20, v21, v20
	v_sub_f32_e32 v13, v19, v13
	v_sub_f32_e32 v19, v27, v61
	s_delay_alu instid0(VALU_DEP_3) | instskip(SKIP_2) | instid1(VALU_DEP_3)
	v_dual_add_f32 v27, v36, v38 :: v_dual_add_f32 v30, v25, v23
	v_dual_sub_f32 v32, v25, v23 :: v_dual_add_f32 v29, v24, v22
	v_dual_sub_f32 v31, v24, v22 :: v_dual_sub_f32 v24, v26, v24
	v_dual_sub_f32 v22, v22, v26 :: v_dual_sub_f32 v23, v23, v27
	v_sub_f32_e32 v21, v38, v36
	v_sub_f32_e32 v25, v27, v25
	s_delay_alu instid0(VALU_DEP_3) | instskip(NEXT) | instid1(VALU_DEP_4)
	v_dual_add_f32 v35, v20, v13 :: v_dual_mul_f32 v22, 0x3f4a47b2, v22
	v_mul_f32_e32 v23, 0x3f4a47b2, v23
	s_delay_alu instid0(VALU_DEP_4)
	v_add_f32_e32 v36, v21, v19
	v_sub_f32_e32 v38, v21, v19
	v_dual_sub_f32 v39, v13, v12 :: v_dual_add_f32 v26, v26, v29
	v_sub_f32_e32 v37, v20, v13
	v_dual_add_f32 v27, v27, v30 :: v_dual_mul_f32 v30, 0x3d64c772, v24
	v_sub_f32_e32 v20, v12, v20
	v_sub_f32_e32 v21, v16, v21
	;; [unrolled: 1-line block ×3, first 2 shown]
	v_add_f32_e32 v29, v35, v12
	v_add_f32_e32 v16, v36, v16
	v_mul_f32_e32 v36, 0xbf08b237, v37
	v_dual_add_f32 v12, v17, v26 :: v_dual_fmamk_f32 v17, v24, 0x3d64c772, v22
	v_mul_f32_e32 v35, 0x3d64c772, v25
	v_fma_f32 v24, 0x3f3bfb3b, v31, -v30
	v_mul_f32_e32 v37, 0xbf08b237, v38
	v_mul_f32_e32 v61, 0x3f5ff5aa, v19
	v_dual_add_f32 v13, v18, v27 :: v_dual_fmamk_f32 v30, v20, 0x3eae86e6, v36
	v_fmamk_f32 v18, v25, 0x3d64c772, v23
	v_fma_f32 v25, 0x3f3bfb3b, v32, -v35
	v_fma_f32 v35, 0x3f5ff5aa, v19, -v37
	v_fmamk_f32 v19, v26, 0xbf955555, v12
	v_fma_f32 v22, 0xbf3bfb3b, v31, -v22
	v_mul_f32_e32 v38, 0x3f5ff5aa, v39
	s_delay_alu instid0(VALU_DEP_3) | instskip(SKIP_3) | instid1(VALU_DEP_3)
	v_dual_fmac_f32 v35, 0x3ee1c552, v16 :: v_dual_add_f32 v24, v24, v19
	v_fmamk_f32 v31, v21, 0x3eae86e6, v37
	v_fma_f32 v37, 0xbeae86e6, v21, -v61
	v_fmac_f32_e32 v30, 0x3ee1c552, v29
	v_dual_add_f32 v26, v17, v19 :: v_dual_fmac_f32 v31, 0x3ee1c552, v16
	s_delay_alu instid0(VALU_DEP_1)
	v_dual_fmac_f32 v37, 0x3ee1c552, v16 :: v_dual_add_f32 v16, v31, v26
	v_sub_f32_e32 v26, v26, v31
	v_fma_f32 v23, 0xbf3bfb3b, v32, -v23
	v_fma_f32 v32, 0x3f5ff5aa, v39, -v36
	;; [unrolled: 1-line block ×3, first 2 shown]
	v_fmamk_f32 v20, v27, 0xbf955555, v13
	s_delay_alu instid0(VALU_DEP_3) | instskip(NEXT) | instid1(VALU_DEP_2)
	v_fmac_f32_e32 v32, 0x3ee1c552, v29
	v_dual_fmac_f32 v36, 0x3ee1c552, v29 :: v_dual_add_f32 v27, v18, v20
	v_dual_add_f32 v29, v22, v19 :: v_dual_add_f32 v22, v35, v24
	v_add_f32_e32 v38, v23, v20
	v_add_f32_e32 v23, v25, v20
	s_delay_alu instid0(VALU_DEP_3) | instskip(SKIP_1) | instid1(VALU_DEP_4)
	v_dual_sub_f32 v17, v27, v30 :: v_dual_add_f32 v18, v37, v29
	v_sub_f32_e32 v20, v24, v35
	v_dual_sub_f32 v24, v29, v37 :: v_dual_sub_f32 v19, v38, v36
	s_delay_alu instid0(VALU_DEP_4)
	v_add_f32_e32 v21, v32, v23
	v_sub_f32_e32 v23, v23, v32
	v_add_f32_e32 v25, v36, v38
	v_add_f32_e32 v27, v30, v27
	ds_store_2addr_b64 v59, v[12:13], v[16:17] offset1:2
	ds_store_2addr_b64 v59, v[18:19], v[20:21] offset0:4 offset1:6
	ds_store_2addr_b64 v59, v[22:23], v[24:25] offset0:8 offset1:10
	ds_store_b64 v59, v[26:27] offset:96
	global_wb scope:SCOPE_SE
	s_wait_dscnt 0x0
	s_barrier_signal -1
	s_barrier_wait -1
	global_inv scope:SCOPE_SE
	s_clause 0x2
	global_load_b128 v[24:27], v[33:34], off offset:96
	global_load_b128 v[20:23], v[33:34], off offset:112
	;; [unrolled: 1-line block ×3, first 2 shown]
	ds_load_2addr_b64 v[29:32], v56 offset1:14
	ds_load_2addr_b64 v[33:36], v56 offset0:28 offset1:42
	ds_load_2addr_b64 v[61:64], v56 offset0:56 offset1:70
	ds_load_b64 v[12:13], v56 offset:672
	s_wait_loadcnt_dscnt 0x203
	v_mul_f32_e32 v37, v32, v25
	v_mul_f32_e32 v38, v31, v25
	s_wait_loadcnt_dscnt 0x0
	v_mul_f32_e32 v72, v13, v19
	v_mul_f32_e32 v70, v64, v17
	;; [unrolled: 1-line block ×3, first 2 shown]
	v_fma_f32 v31, v31, v24, -v37
	v_mul_f32_e32 v71, v63, v17
	v_fma_f32 v12, v12, v18, -v72
	v_dual_mul_f32 v39, v34, v27 :: v_dual_fmac_f32 v38, v32, v24
	v_fmac_f32_e32 v73, v13, v18
	v_fma_f32 v13, v63, v16, -v70
	v_mul_f32_e32 v66, v36, v21
	s_delay_alu instid0(VALU_DEP_4) | instskip(NEXT) | instid1(VALU_DEP_1)
	v_fma_f32 v32, v33, v26, -v39
	v_dual_mul_f32 v68, v62, v23 :: v_dual_add_f32 v37, v32, v13
	v_sub_f32_e32 v13, v32, v13
	v_fmac_f32_e32 v71, v64, v16
	v_mul_f32_e32 v67, v35, v21
	s_delay_alu instid0(VALU_DEP_1) | instskip(SKIP_4) | instid1(VALU_DEP_4)
	v_dual_fmac_f32 v67, v36, v20 :: v_dual_add_f32 v36, v38, v73
	v_mul_f32_e32 v65, v33, v27
	v_fma_f32 v33, v35, v20, -v66
	v_add_f32_e32 v35, v31, v12
	v_dual_sub_f32 v12, v31, v12 :: v_dual_sub_f32 v31, v38, v73
	v_fmac_f32_e32 v65, v34, v26
	v_fma_f32 v34, v61, v22, -v68
	v_mul_f32_e32 v69, v61, v23
	s_delay_alu instid0(VALU_DEP_2) | instskip(SKIP_1) | instid1(VALU_DEP_1)
	v_add_f32_e32 v39, v33, v34
	v_sub_f32_e32 v33, v34, v33
	v_add_f32_e32 v66, v33, v13
	v_sub_f32_e32 v68, v33, v13
	v_sub_f32_e32 v33, v12, v33
	;; [unrolled: 1-line block ×3, first 2 shown]
	s_delay_alu instid0(VALU_DEP_4) | instskip(SKIP_3) | instid1(VALU_DEP_3)
	v_add_f32_e32 v12, v66, v12
	v_dual_fmac_f32 v69, v62, v22 :: v_dual_sub_f32 v64, v37, v35
	v_add_f32_e32 v62, v37, v35
	v_add_f32_e32 v38, v65, v71
	v_dual_sub_f32 v32, v65, v71 :: v_dual_add_f32 v61, v67, v69
	v_sub_f32_e32 v34, v69, v67
	v_mul_f32_e32 v66, 0xbf08b237, v68
	s_delay_alu instid0(VALU_DEP_4) | instskip(NEXT) | instid1(VALU_DEP_4)
	v_dual_add_f32 v63, v38, v36 :: v_dual_mul_f32 v68, 0x3f5ff5aa, v13
	v_dual_sub_f32 v65, v38, v36 :: v_dual_sub_f32 v36, v36, v61
	v_dual_sub_f32 v37, v39, v37 :: v_dual_sub_f32 v38, v61, v38
	v_add_f32_e32 v67, v34, v32
	v_sub_f32_e32 v69, v34, v32
	v_add_f32_e32 v61, v61, v63
	v_sub_f32_e32 v35, v35, v39
	v_fma_f32 v13, 0x3f5ff5aa, v13, -v66
	v_dual_add_f32 v39, v39, v62 :: v_dual_mul_f32 v36, 0x3f4a47b2, v36
	v_sub_f32_e32 v34, v31, v34
	v_sub_f32_e32 v32, v32, v31
	v_mul_f32_e32 v62, 0x3d64c772, v37
	v_dual_add_f32 v30, v30, v61 :: v_dual_mul_f32 v35, 0x3f4a47b2, v35
	v_fmac_f32_e32 v13, 0x3ee1c552, v12
	v_add_f32_e32 v31, v67, v31
	v_mul_f32_e32 v63, 0x3d64c772, v38
	v_mul_f32_e32 v67, 0xbf08b237, v69
	v_dual_fmamk_f32 v37, v37, 0x3d64c772, v35 :: v_dual_fmamk_f32 v38, v38, 0x3d64c772, v36
	v_fma_f32 v62, 0x3f3bfb3b, v64, -v62
	v_fma_f32 v35, 0xbf3bfb3b, v64, -v35
	v_fmamk_f32 v64, v33, 0x3eae86e6, v66
	v_fma_f32 v63, 0x3f3bfb3b, v65, -v63
	v_fma_f32 v36, 0xbf3bfb3b, v65, -v36
	v_fmamk_f32 v65, v34, 0x3eae86e6, v67
	v_fma_f32 v66, 0x3f5ff5aa, v32, -v67
	v_fma_f32 v67, 0xbeae86e6, v33, -v68
	v_add_f32_e32 v29, v29, v39
	v_fmamk_f32 v33, v61, 0xbf955555, v30
	v_fmac_f32_e32 v64, 0x3ee1c552, v12
	s_delay_alu instid0(VALU_DEP_4) | instskip(SKIP_1) | instid1(VALU_DEP_4)
	v_fmac_f32_e32 v67, 0x3ee1c552, v12
	v_mul_f32_e32 v69, 0x3f5ff5aa, v32
	v_dual_fmamk_f32 v32, v39, 0xbf955555, v29 :: v_dual_add_f32 v39, v38, v33
	v_add_f32_e32 v38, v63, v33
	s_delay_alu instid0(VALU_DEP_3) | instskip(NEXT) | instid1(VALU_DEP_3)
	v_fma_f32 v68, 0xbeae86e6, v34, -v69
	v_add_f32_e32 v12, v37, v32
	v_dual_add_f32 v37, v62, v32 :: v_dual_add_f32 v62, v36, v33
	s_delay_alu instid0(VALU_DEP_4) | instskip(SKIP_3) | instid1(VALU_DEP_4)
	v_dual_add_f32 v36, v13, v38 :: v_dual_fmac_f32 v65, 0x3ee1c552, v31
	v_fmac_f32_e32 v66, 0x3ee1c552, v31
	v_dual_fmac_f32 v68, 0x3ee1c552, v31 :: v_dual_add_f32 v61, v35, v32
	v_sub_f32_e32 v32, v39, v64
	v_dual_add_f32 v31, v65, v12 :: v_dual_sub_f32 v34, v62, v67
	s_delay_alu instid0(VALU_DEP_4) | instskip(NEXT) | instid1(VALU_DEP_4)
	v_sub_f32_e32 v35, v37, v66
	v_add_f32_e32 v33, v68, v61
	v_add_f32_e32 v37, v66, v37
	v_dual_sub_f32 v38, v38, v13 :: v_dual_sub_f32 v61, v61, v68
	v_add_f32_e32 v62, v67, v62
	v_sub_f32_e32 v12, v12, v65
	v_add_f32_e32 v13, v64, v39
	ds_store_2addr_b64 v56, v[29:30], v[31:32] offset1:14
	ds_store_2addr_b64 v56, v[33:34], v[35:36] offset0:28 offset1:42
	ds_store_2addr_b64 v56, v[37:38], v[61:62] offset0:56 offset1:70
	ds_store_b64 v56, v[12:13] offset:672
	global_wb scope:SCOPE_SE
	s_wait_dscnt 0x0
	s_barrier_signal -1
	s_barrier_wait -1
	global_inv scope:SCOPE_SE
	s_clause 0x5
	global_load_b64 v[37:38], v[41:42], off offset:784
	global_load_b64 v[65:66], v28, s[0:1] offset:392
	global_load_b64 v[67:68], v28, s[0:1] offset:112
	;; [unrolled: 1-line block ×5, first 2 shown]
	ds_load_2addr_b64 v[29:32], v56 offset1:14
	ds_load_2addr_b64 v[33:36], v56 offset0:28 offset1:49
	ds_load_2addr_b64 v[61:64], v56 offset0:63 offset1:77
	s_wait_loadcnt_dscnt 0x502
	v_mul_f32_e32 v76, v30, v38
	v_mul_f32_e32 v39, v29, v38
	s_wait_loadcnt_dscnt 0x401
	v_mul_f32_e32 v77, v36, v66
	s_wait_loadcnt 0x3
	v_dual_mul_f32 v75, v35, v66 :: v_dual_mul_f32 v78, v32, v68
	s_wait_loadcnt_dscnt 0x200
	v_dual_mul_f32 v66, v31, v68 :: v_dual_mul_f32 v79, v62, v70
	v_mul_f32_e32 v68, v61, v70
	s_wait_loadcnt 0x1
	v_mul_f32_e32 v80, v34, v72
	s_wait_loadcnt 0x0
	v_dual_mul_f32 v70, v33, v72 :: v_dual_mul_f32 v81, v64, v74
	v_mul_f32_e32 v72, v63, v74
	v_fma_f32 v38, v29, v37, -v76
	v_fmac_f32_e32 v39, v30, v37
	v_fma_f32 v74, v35, v65, -v77
	v_fmac_f32_e32 v75, v36, v65
	v_fmac_f32_e32 v72, v64, v73
	v_fma_f32 v65, v31, v67, -v78
	v_fmac_f32_e32 v66, v32, v67
	v_fma_f32 v67, v61, v69, -v79
	;; [unrolled: 2-line block ×4, first 2 shown]
	ds_store_2addr_b64 v56, v[38:39], v[65:66] offset1:14
	ds_store_2addr_b64 v56, v[69:70], v[74:75] offset0:28 offset1:49
	ds_store_2addr_b64 v56, v[67:68], v[71:72] offset0:63 offset1:77
	s_and_saveexec_b32 s2, vcc_lo
	s_cbranch_execz .LBB0_9
; %bb.8:
	s_wait_alu 0xfffe
	v_add_co_u32 v28, s0, s0, v28
	s_wait_alu 0xf1ff
	v_add_co_ci_u32_e64 v29, null, s1, 0, s0
	s_clause 0x1
	global_load_b64 v[32:33], v[28:29], off offset:336
	global_load_b64 v[34:35], v[28:29], off offset:728
	ds_load_2addr_b64 v[28:31], v56 offset0:42 offset1:91
	s_wait_loadcnt_dscnt 0x0
	v_dual_mul_f32 v37, v29, v33 :: v_dual_mul_f32 v38, v31, v35
	v_dual_mul_f32 v36, v28, v33 :: v_dual_mul_f32 v33, v30, v35
	s_delay_alu instid0(VALU_DEP_2) | instskip(NEXT) | instid1(VALU_DEP_2)
	v_fma_f32 v35, v28, v32, -v37
	v_dual_fmac_f32 v36, v29, v32 :: v_dual_fmac_f32 v33, v31, v34
	s_delay_alu instid0(VALU_DEP_4)
	v_fma_f32 v32, v30, v34, -v38
	ds_store_2addr_b64 v56, v[35:36], v[32:33] offset0:42 offset1:91
.LBB0_9:
	s_wait_alu 0xfffe
	s_or_b32 exec_lo, exec_lo, s2
	global_wb scope:SCOPE_SE
	s_wait_dscnt 0x0
	s_barrier_signal -1
	s_barrier_wait -1
	global_inv scope:SCOPE_SE
	ds_load_2addr_b64 v[28:31], v56 offset1:14
	ds_load_2addr_b64 v[32:35], v56 offset0:28 offset1:49
	ds_load_2addr_b64 v[36:39], v56 offset0:63 offset1:77
	v_add_nc_u32_e32 v61, 0xe0, v60
	v_add_nc_u32_e32 v60, 0x1c0, v60
	s_and_saveexec_b32 s0, vcc_lo
	s_cbranch_execz .LBB0_11
; %bb.10:
	ds_load_2addr_b64 v[12:15], v56 offset0:42 offset1:91
.LBB0_11:
	s_wait_alu 0xfffe
	s_or_b32 exec_lo, exec_lo, s0
	s_wait_dscnt 0x1
	v_dual_sub_f32 v64, v28, v34 :: v_dual_sub_f32 v65, v29, v35
	s_wait_dscnt 0x0
	v_dual_sub_f32 v36, v30, v36 :: v_dual_sub_f32 v37, v31, v37
	v_dual_sub_f32 v68, v32, v38 :: v_dual_sub_f32 v69, v33, v39
	s_delay_alu instid0(VALU_DEP_3) | instskip(SKIP_1) | instid1(VALU_DEP_4)
	v_fma_f32 v62, v28, 2.0, -v64
	v_fma_f32 v63, v29, 2.0, -v65
	;; [unrolled: 1-line block ×6, first 2 shown]
	global_wb scope:SCOPE_SE
	s_barrier_signal -1
	s_barrier_wait -1
	global_inv scope:SCOPE_SE
	ds_store_b128 v58, v[62:65]
	ds_store_b128 v61, v[34:37]
	;; [unrolled: 1-line block ×3, first 2 shown]
	s_and_saveexec_b32 s0, vcc_lo
	s_cbranch_execz .LBB0_13
; %bb.12:
	v_dual_sub_f32 v15, v13, v15 :: v_dual_sub_f32 v14, v12, v14
	s_delay_alu instid0(VALU_DEP_1) | instskip(NEXT) | instid1(VALU_DEP_2)
	v_fma_f32 v13, v13, 2.0, -v15
	v_fma_f32 v12, v12, 2.0, -v14
	ds_store_b128 v57, v[12:15]
.LBB0_13:
	s_wait_alu 0xfffe
	s_or_b32 exec_lo, exec_lo, s0
	global_wb scope:SCOPE_SE
	s_wait_dscnt 0x0
	s_barrier_signal -1
	s_barrier_wait -1
	global_inv scope:SCOPE_SE
	ds_load_2addr_b64 v[12:15], v56 offset1:14
	ds_load_2addr_b64 v[28:31], v56 offset0:28 offset1:42
	ds_load_2addr_b64 v[32:35], v56 offset0:56 offset1:70
	ds_load_b64 v[36:37], v56 offset:672
	global_wb scope:SCOPE_SE
	s_wait_dscnt 0x0
	s_barrier_signal -1
	s_barrier_wait -1
	global_inv scope:SCOPE_SE
	s_mov_b32 s2, 0xa72f0539
	s_mov_b32 s3, 0x3f84e5e0
	v_dual_mul_f32 v38, v9, v15 :: v_dual_mul_f32 v39, v11, v29
	v_dual_mul_f32 v9, v9, v14 :: v_dual_mul_f32 v58, v7, v33
	;; [unrolled: 1-line block ×3, first 2 shown]
	s_delay_alu instid0(VALU_DEP_3) | instskip(NEXT) | instid1(VALU_DEP_3)
	v_dual_mul_f32 v57, v5, v31 :: v_dual_fmac_f32 v38, v8, v14
	v_fma_f32 v8, v8, v15, -v9
	v_mul_f32_e32 v61, v3, v37
	v_dual_mul_f32 v5, v5, v30 :: v_dual_fmac_f32 v58, v6, v32
	v_dual_mul_f32 v7, v7, v32 :: v_dual_fmac_f32 v60, v0, v34
	v_mul_f32_e32 v1, v1, v34
	s_delay_alu instid0(VALU_DEP_4) | instskip(SKIP_2) | instid1(VALU_DEP_4)
	v_fmac_f32_e32 v61, v2, v36
	v_mul_f32_e32 v3, v3, v36
	v_fma_f32 v9, v10, v29, -v11
	v_fma_f32 v0, v0, v35, -v1
	v_fmac_f32_e32 v57, v4, v30
	v_fma_f32 v4, v4, v31, -v5
	v_fma_f32 v2, v2, v37, -v3
	v_fma_f32 v3, v6, v33, -v7
	v_add_f32_e32 v1, v38, v61
	s_delay_alu instid0(VALU_DEP_3)
	v_add_f32_e32 v5, v8, v2
	v_sub_f32_e32 v2, v8, v2
	v_add_f32_e32 v8, v9, v0
	v_sub_f32_e32 v14, v58, v57
	v_sub_f32_e32 v0, v9, v0
	v_fmac_f32_e32 v39, v10, v28
	v_add_f32_e32 v11, v4, v3
	v_add_f32_e32 v9, v57, v58
	v_add_f32_e32 v15, v8, v5
	s_delay_alu instid0(VALU_DEP_3) | instskip(NEXT) | instid1(VALU_DEP_3)
	v_dual_sub_f32 v29, v8, v5 :: v_dual_sub_f32 v8, v11, v8
	v_dual_add_f32 v7, v39, v60 :: v_dual_sub_f32 v30, v1, v9
	s_delay_alu instid0(VALU_DEP_1) | instskip(SKIP_3) | instid1(VALU_DEP_2)
	v_sub_f32_e32 v28, v7, v1
	v_dual_sub_f32 v6, v38, v61 :: v_dual_sub_f32 v3, v3, v4
	v_add_f32_e32 v4, v7, v1
	v_sub_f32_e32 v10, v39, v60
	v_add_f32_e32 v4, v9, v4
	s_delay_alu instid0(VALU_DEP_2)
	v_dual_sub_f32 v7, v9, v7 :: v_dual_sub_f32 v32, v14, v10
	v_add_f32_e32 v1, v14, v10
	v_dual_sub_f32 v14, v6, v14 :: v_dual_add_f32 v31, v3, v0
	v_sub_f32_e32 v5, v5, v11
	v_dual_sub_f32 v33, v3, v0 :: v_dual_sub_f32 v10, v10, v6
	v_add_f32_e32 v9, v11, v15
	v_sub_f32_e32 v11, v0, v2
	v_dual_add_f32 v0, v12, v4 :: v_dual_sub_f32 v3, v2, v3
	v_mul_f32_e32 v12, 0x3f4a47b2, v30
	v_mul_f32_e32 v30, 0x3f08b237, v32
	;; [unrolled: 1-line block ×3, first 2 shown]
	v_add_f32_e32 v6, v1, v6
	v_add_f32_e32 v2, v31, v2
	v_fmamk_f32 v4, v4, 0xbf955555, v0
	v_mul_f32_e32 v5, 0x3f4a47b2, v5
	v_add_f32_e32 v1, v13, v9
	v_mul_f32_e32 v15, 0x3d64c772, v8
	v_fma_f32 v10, 0xbf5ff5aa, v10, -v30
	s_delay_alu instid0(VALU_DEP_4) | instskip(NEXT) | instid1(VALU_DEP_4)
	v_fmamk_f32 v8, v8, 0x3d64c772, v5
	v_fmamk_f32 v9, v9, 0xbf955555, v1
	v_mul_f32_e32 v13, 0x3d64c772, v7
	v_fmamk_f32 v7, v7, 0x3d64c772, v12
	v_fma_f32 v12, 0xbf3bfb3b, v28, -v12
	v_mul_f32_e32 v31, 0x3f08b237, v33
	v_fma_f32 v15, 0x3f3bfb3b, v29, -v15
	v_fma_f32 v13, 0x3f3bfb3b, v28, -v13
	v_fmamk_f32 v28, v14, 0xbeae86e6, v30
	v_dual_add_f32 v12, v12, v4 :: v_dual_mul_f32 v33, 0xbf5ff5aa, v11
	v_fma_f32 v11, 0xbf5ff5aa, v11, -v31
	v_fma_f32 v14, 0x3eae86e6, v14, -v32
	v_add_f32_e32 v32, v8, v9
	v_add_f32_e32 v8, v13, v4
	v_fma_f32 v5, 0xbf3bfb3b, v29, -v5
	v_fmamk_f32 v29, v3, 0xbeae86e6, v31
	v_fma_f32 v30, 0x3eae86e6, v3, -v33
	v_dual_add_f32 v31, v7, v4 :: v_dual_fmac_f32 v28, 0xbee1c552, v6
	v_fmac_f32_e32 v10, 0xbee1c552, v6
	s_delay_alu instid0(VALU_DEP_4) | instskip(SKIP_1) | instid1(VALU_DEP_4)
	v_fmac_f32_e32 v29, 0xbee1c552, v2
	v_fmac_f32_e32 v11, 0xbee1c552, v2
	v_dual_fmac_f32 v30, 0xbee1c552, v2 :: v_dual_sub_f32 v3, v32, v28
	v_fmac_f32_e32 v14, 0xbee1c552, v6
	s_delay_alu instid0(VALU_DEP_4) | instskip(NEXT) | instid1(VALU_DEP_4)
	v_add_f32_e32 v2, v29, v31
	v_dual_sub_f32 v6, v8, v11 :: v_dual_add_f32 v13, v15, v9
	s_delay_alu instid0(VALU_DEP_4) | instskip(NEXT) | instid1(VALU_DEP_2)
	v_dual_add_f32 v15, v5, v9 :: v_dual_add_f32 v4, v30, v12
	v_add_f32_e32 v7, v10, v13
	v_sub_f32_e32 v9, v13, v10
	v_sub_f32_e32 v10, v12, v30
	;; [unrolled: 1-line block ×3, first 2 shown]
	v_add_f32_e32 v8, v11, v8
	v_sub_f32_e32 v5, v15, v14
	v_add_f32_e32 v11, v14, v15
	v_add_f32_e32 v13, v28, v32
	ds_store_2addr_b64 v59, v[0:1], v[2:3] offset1:2
	ds_store_2addr_b64 v59, v[4:5], v[6:7] offset0:4 offset1:6
	ds_store_2addr_b64 v59, v[8:9], v[10:11] offset0:8 offset1:10
	ds_store_b64 v59, v[12:13] offset:96
	global_wb scope:SCOPE_SE
	s_wait_dscnt 0x0
	s_barrier_signal -1
	s_barrier_wait -1
	global_inv scope:SCOPE_SE
	ds_load_2addr_b64 v[0:3], v56 offset1:14
	ds_load_2addr_b64 v[4:7], v56 offset0:28 offset1:42
	ds_load_2addr_b64 v[8:11], v56 offset0:56 offset1:70
	ds_load_b64 v[12:13], v56 offset:672
	s_wait_dscnt 0x3
	v_mul_f32_e32 v14, v25, v3
	v_mul_f32_e32 v15, v25, v2
	s_wait_dscnt 0x1
	s_delay_alu instid0(VALU_DEP_2) | instskip(NEXT) | instid1(VALU_DEP_1)
	v_dual_mul_f32 v25, v23, v9 :: v_dual_fmac_f32 v14, v24, v2
	v_fmac_f32_e32 v25, v22, v8
	v_mul_f32_e32 v8, v23, v8
	v_fma_f32 v2, v24, v3, -v15
	v_dual_mul_f32 v24, v21, v7 :: v_dual_mul_f32 v3, v27, v5
	v_mul_f32_e32 v21, v21, v6
	s_delay_alu instid0(VALU_DEP_4) | instskip(NEXT) | instid1(VALU_DEP_3)
	v_fma_f32 v8, v22, v9, -v8
	v_fmac_f32_e32 v24, v20, v6
	s_wait_dscnt 0x0
	v_dual_mul_f32 v6, v19, v13 :: v_dual_fmac_f32 v3, v26, v4
	s_delay_alu instid0(VALU_DEP_1) | instskip(SKIP_1) | instid1(VALU_DEP_1)
	v_fmac_f32_e32 v6, v18, v12
	v_mul_f32_e32 v15, v27, v4
	v_fma_f32 v4, v26, v5, -v15
	v_mul_f32_e32 v15, v17, v11
	v_fma_f32 v5, v20, v7, -v21
	v_mul_f32_e32 v17, v17, v10
	v_mad_co_u64_u32 v[26:27], null, s4, v55, 0
	s_delay_alu instid0(VALU_DEP_4) | instskip(SKIP_1) | instid1(VALU_DEP_4)
	v_fmac_f32_e32 v15, v16, v10
	v_dual_add_f32 v10, v14, v6 :: v_dual_mul_f32 v7, v19, v12
	v_fma_f32 v9, v16, v11, -v17
	v_sub_f32_e32 v6, v14, v6
	s_delay_alu instid0(VALU_DEP_3) | instskip(NEXT) | instid1(VALU_DEP_3)
	v_fma_f32 v7, v18, v13, -v7
	v_add_f32_e32 v12, v4, v9
	v_sub_f32_e32 v4, v4, v9
	v_dual_sub_f32 v14, v25, v24 :: v_dual_add_f32 v9, v24, v25
	s_delay_alu instid0(VALU_DEP_4)
	v_add_f32_e32 v11, v2, v7
	v_sub_f32_e32 v2, v2, v7
	v_add_f32_e32 v7, v3, v15
	v_sub_f32_e32 v3, v3, v15
	v_add_f32_e32 v13, v5, v8
	v_mad_co_u64_u32 v[24:25], null, s6, v40, 0
	s_delay_alu instid0(VALU_DEP_3)
	v_dual_add_f32 v18, v14, v3 :: v_dual_sub_f32 v5, v8, v5
	v_sub_f32_e32 v20, v14, v3
	v_sub_f32_e32 v14, v6, v14
	v_add_f32_e32 v8, v7, v10
	v_sub_f32_e32 v16, v7, v10
	v_dual_sub_f32 v10, v10, v9 :: v_dual_sub_f32 v17, v12, v11
	v_sub_f32_e32 v7, v9, v7
	s_delay_alu instid0(VALU_DEP_4) | instskip(SKIP_2) | instid1(VALU_DEP_3)
	v_dual_add_f32 v8, v9, v8 :: v_dual_sub_f32 v3, v3, v6
	v_dual_add_f32 v6, v18, v6 :: v_dual_add_f32 v19, v5, v4
	v_dual_sub_f32 v21, v5, v4 :: v_dual_sub_f32 v4, v4, v2
	v_add_f32_e32 v0, v0, v8
	v_mul_f32_e32 v10, 0x3f4a47b2, v10
	v_mul_f32_e32 v18, 0x3f08b237, v20
	;; [unrolled: 1-line block ×3, first 2 shown]
	v_add_f32_e32 v15, v12, v11
	v_dual_sub_f32 v11, v11, v13 :: v_dual_sub_f32 v12, v13, v12
	v_fmamk_f32 v8, v8, 0xbf955555, v0
	v_mad_co_u64_u32 v[28:29], null, s7, v40, v[25:26]
	s_delay_alu instid0(VALU_DEP_3)
	v_mul_f32_e32 v11, 0x3f4a47b2, v11
	v_dual_sub_f32 v5, v2, v5 :: v_dual_add_f32 v2, v19, v2
	v_add_f32_e32 v9, v13, v15
	v_mul_f32_e32 v13, 0x3d64c772, v7
	v_fmamk_f32 v7, v7, 0x3d64c772, v10
	v_fma_f32 v10, 0xbf3bfb3b, v16, -v10
	v_mov_b32_e32 v25, v28
	v_mad_co_u64_u32 v[27:28], null, s5, v55, v[27:28]
	v_fma_f32 v13, 0x3f3bfb3b, v16, -v13
	v_fmamk_f32 v16, v14, 0xbeae86e6, v18
	v_dual_add_f32 v10, v10, v8 :: v_dual_add_f32 v1, v1, v9
	v_mul_f32_e32 v15, 0x3d64c772, v12
	v_mul_f32_e32 v19, 0x3f08b237, v21
	v_fmamk_f32 v12, v12, 0x3d64c772, v11
	v_fmac_f32_e32 v16, 0xbee1c552, v6
	v_fmamk_f32 v9, v9, 0xbf955555, v1
	v_fma_f32 v15, 0x3f3bfb3b, v17, -v15
	v_fma_f32 v18, 0xbf5ff5aa, v3, -v18
	;; [unrolled: 1-line block ×3, first 2 shown]
	v_lshlrev_b64_e32 v[24:25], 3, v[24:25]
	v_add_f32_e32 v22, v12, v9
	v_fma_f32 v11, 0xbf3bfb3b, v17, -v11
	v_add_f32_e32 v12, v13, v8
	v_fmamk_f32 v17, v5, 0xbeae86e6, v19
	v_fma_f32 v19, 0xbf5ff5aa, v4, -v19
	v_dual_fmac_f32 v18, 0xbee1c552, v6 :: v_dual_sub_f32 v3, v22, v16
	v_fmac_f32_e32 v14, 0xbee1c552, v6
	s_delay_alu instid0(VALU_DEP_4) | instskip(NEXT) | instid1(VALU_DEP_4)
	v_fmac_f32_e32 v17, 0xbee1c552, v2
	v_fmac_f32_e32 v19, 0xbee1c552, v2
	v_mul_f32_e32 v21, 0xbf5ff5aa, v4
	v_add_co_u32 v24, s0, s8, v24
	s_wait_alu 0xf1ff
	v_add_co_ci_u32_e64 v25, s0, s9, v25, s0
	v_sub_f32_e32 v6, v12, v19
	v_fma_f32 v20, 0x3eae86e6, v5, -v21
	s_movk_i32 s8, 0xffdd
	s_mov_b32 s9, -1
	s_delay_alu instid0(VALU_DEP_1) | instskip(NEXT) | instid1(VALU_DEP_1)
	v_fmac_f32_e32 v20, 0xbee1c552, v2
	v_add_f32_e32 v4, v20, v10
	v_sub_f32_e32 v10, v10, v20
	v_add_f32_e32 v21, v7, v8
	v_add_f32_e32 v8, v19, v12
	;; [unrolled: 1-line block ×4, first 2 shown]
	s_delay_alu instid0(VALU_DEP_4) | instskip(SKIP_1) | instid1(VALU_DEP_4)
	v_add_f32_e32 v2, v17, v21
	v_sub_f32_e32 v12, v21, v17
	v_add_f32_e32 v7, v18, v13
	s_delay_alu instid0(VALU_DEP_4)
	v_sub_f32_e32 v5, v11, v14
	v_sub_f32_e32 v9, v13, v18
	v_add_f32_e32 v11, v14, v11
	v_add_f32_e32 v13, v16, v22
	ds_store_2addr_b64 v56, v[0:1], v[2:3] offset1:14
	ds_store_2addr_b64 v56, v[4:5], v[6:7] offset0:28 offset1:42
	ds_store_2addr_b64 v56, v[8:9], v[10:11] offset0:56 offset1:70
	ds_store_b64 v56, v[12:13] offset:672
	global_wb scope:SCOPE_SE
	s_wait_dscnt 0x0
	s_barrier_signal -1
	s_barrier_wait -1
	global_inv scope:SCOPE_SE
	ds_load_2addr_b64 v[0:3], v56 offset1:14
	ds_load_2addr_b64 v[4:7], v56 offset0:28 offset1:49
	ds_load_2addr_b64 v[8:11], v56 offset0:63 offset1:77
	s_wait_dscnt 0x2
	v_mul_f32_e32 v12, v50, v1
	v_mul_f32_e32 v13, v50, v0
	s_wait_dscnt 0x0
	v_mul_f32_e32 v22, v54, v11
	v_mul_f32_e32 v18, v44, v9
	v_mul_f32_e32 v16, v48, v3
	v_fmac_f32_e32 v12, v49, v0
	v_fma_f32 v13, v49, v1, -v13
	v_mul_f32_e32 v14, v46, v7
	v_dual_mul_f32 v15, v46, v6 :: v_dual_mul_f32 v20, v52, v5
	v_dual_mul_f32 v17, v48, v2 :: v_dual_fmac_f32 v18, v43, v8
	v_mul_f32_e32 v8, v44, v8
	v_cvt_f64_f32_e32 v[0:1], v12
	s_delay_alu instid0(VALU_DEP_4)
	v_fmac_f32_e32 v20, v51, v4
	v_cvt_f64_f32_e32 v[12:13], v13
	v_dual_fmac_f32 v16, v47, v2 :: v_dual_mul_f32 v21, v52, v4
	v_mul_f32_e32 v23, v54, v10
	v_fmac_f32_e32 v14, v45, v6
	v_fma_f32 v6, v45, v7, -v15
	v_fma_f32 v17, v47, v3, -v17
	;; [unrolled: 1-line block ×4, first 2 shown]
	v_fmac_f32_e32 v22, v53, v10
	v_fma_f32 v23, v53, v11, -v23
	v_cvt_f64_f32_e32 v[2:3], v14
	v_cvt_f64_f32_e32 v[6:7], v6
	;; [unrolled: 1-line block ×10, first 2 shown]
	s_wait_alu 0xfffe
	v_mul_f64_e32 v[0:1], s[2:3], v[0:1]
	v_mul_f64_e32 v[12:13], s[2:3], v[12:13]
	;; [unrolled: 1-line block ×12, first 2 shown]
	v_cvt_f32_f64_e32 v0, v[0:1]
	v_cvt_f32_f64_e32 v1, v[12:13]
	v_lshlrev_b64_e32 v[12:13], 3, v[26:27]
	v_cvt_f32_f64_e32 v2, v[2:3]
	v_cvt_f32_f64_e32 v3, v[6:7]
	;; [unrolled: 1-line block ×10, first 2 shown]
	v_add_co_u32 v10, s0, v24, v12
	s_wait_alu 0xf1ff
	v_add_co_ci_u32_e64 v11, s0, v25, v13, s0
	s_mul_u64 s[0:1], s[4:5], 49
	s_mul_u64 s[4:5], s[4:5], s[8:9]
	s_wait_alu 0xfffe
	s_lshl_b64 s[6:7], s[0:1], 3
	s_lshl_b64 s[4:5], s[4:5], 3
	s_wait_alu 0xfffe
	v_add_co_u32 v12, s0, v10, s6
	s_wait_alu 0xf1ff
	v_add_co_ci_u32_e64 v13, s0, s7, v11, s0
	s_delay_alu instid0(VALU_DEP_2) | instskip(SKIP_1) | instid1(VALU_DEP_2)
	v_add_co_u32 v16, s0, v12, s4
	s_wait_alu 0xf1ff
	v_add_co_ci_u32_e64 v17, s0, s5, v13, s0
	global_store_b64 v[10:11], v[0:1], off
	v_add_co_u32 v18, s0, v16, s6
	s_wait_alu 0xf1ff
	v_add_co_ci_u32_e64 v19, s0, s7, v17, s0
	s_delay_alu instid0(VALU_DEP_2) | instskip(SKIP_1) | instid1(VALU_DEP_2)
	v_add_co_u32 v20, s0, v18, s4
	s_wait_alu 0xf1ff
	v_add_co_ci_u32_e64 v21, s0, s5, v19, s0
	s_delay_alu instid0(VALU_DEP_2) | instskip(SKIP_1) | instid1(VALU_DEP_2)
	v_add_co_u32 v0, s0, v20, s6
	s_wait_alu 0xf1ff
	v_add_co_ci_u32_e64 v1, s0, s7, v21, s0
	s_clause 0x3
	global_store_b64 v[12:13], v[2:3], off
	global_store_b64 v[16:17], v[6:7], off
	;; [unrolled: 1-line block ×5, first 2 shown]
	s_and_b32 exec_lo, exec_lo, vcc_lo
	s_cbranch_execz .LBB0_15
; %bb.14:
	s_clause 0x1
	global_load_b64 v[6:7], v[41:42], off offset:336
	global_load_b64 v[8:9], v[41:42], off offset:728
	ds_load_2addr_b64 v[2:5], v56 offset0:42 offset1:91
	v_add_co_u32 v0, vcc_lo, v0, s4
	s_wait_alu 0xfffd
	v_add_co_ci_u32_e32 v1, vcc_lo, s5, v1, vcc_lo
	s_wait_loadcnt_dscnt 0x0
	v_dual_mul_f32 v10, v3, v7 :: v_dual_mul_f32 v11, v5, v9
	v_mul_f32_e32 v7, v2, v7
	s_delay_alu instid0(VALU_DEP_2) | instskip(NEXT) | instid1(VALU_DEP_3)
	v_dual_mul_f32 v9, v4, v9 :: v_dual_fmac_f32 v10, v2, v6
	v_fmac_f32_e32 v11, v4, v8
	s_delay_alu instid0(VALU_DEP_3) | instskip(NEXT) | instid1(VALU_DEP_3)
	v_fma_f32 v6, v6, v3, -v7
	v_fma_f32 v8, v8, v5, -v9
	s_delay_alu instid0(VALU_DEP_4) | instskip(NEXT) | instid1(VALU_DEP_3)
	v_cvt_f64_f32_e32 v[2:3], v10
	v_cvt_f64_f32_e32 v[4:5], v6
	v_cvt_f64_f32_e32 v[6:7], v11
	s_delay_alu instid0(VALU_DEP_4) | instskip(NEXT) | instid1(VALU_DEP_4)
	v_cvt_f64_f32_e32 v[8:9], v8
	v_mul_f64_e32 v[2:3], s[2:3], v[2:3]
	s_delay_alu instid0(VALU_DEP_4) | instskip(NEXT) | instid1(VALU_DEP_4)
	v_mul_f64_e32 v[4:5], s[2:3], v[4:5]
	v_mul_f64_e32 v[6:7], s[2:3], v[6:7]
	s_delay_alu instid0(VALU_DEP_4) | instskip(NEXT) | instid1(VALU_DEP_4)
	v_mul_f64_e32 v[8:9], s[2:3], v[8:9]
	v_cvt_f32_f64_e32 v2, v[2:3]
	s_delay_alu instid0(VALU_DEP_4) | instskip(NEXT) | instid1(VALU_DEP_4)
	v_cvt_f32_f64_e32 v3, v[4:5]
	v_cvt_f32_f64_e32 v4, v[6:7]
	s_delay_alu instid0(VALU_DEP_4)
	v_cvt_f32_f64_e32 v5, v[8:9]
	v_add_co_u32 v6, vcc_lo, v0, s6
	s_wait_alu 0xfffd
	v_add_co_ci_u32_e32 v7, vcc_lo, s7, v1, vcc_lo
	global_store_b64 v[0:1], v[2:3], off
	global_store_b64 v[6:7], v[4:5], off
.LBB0_15:
	s_nop 0
	s_sendmsg sendmsg(MSG_DEALLOC_VGPRS)
	s_endpgm
	.section	.rodata,"a",@progbits
	.p2align	6, 0x0
	.amdhsa_kernel bluestein_single_back_len98_dim1_sp_op_CI_CI
		.amdhsa_group_segment_fixed_size 14112
		.amdhsa_private_segment_fixed_size 0
		.amdhsa_kernarg_size 104
		.amdhsa_user_sgpr_count 2
		.amdhsa_user_sgpr_dispatch_ptr 0
		.amdhsa_user_sgpr_queue_ptr 0
		.amdhsa_user_sgpr_kernarg_segment_ptr 1
		.amdhsa_user_sgpr_dispatch_id 0
		.amdhsa_user_sgpr_private_segment_size 0
		.amdhsa_wavefront_size32 1
		.amdhsa_uses_dynamic_stack 0
		.amdhsa_enable_private_segment 0
		.amdhsa_system_sgpr_workgroup_id_x 1
		.amdhsa_system_sgpr_workgroup_id_y 0
		.amdhsa_system_sgpr_workgroup_id_z 0
		.amdhsa_system_sgpr_workgroup_info 0
		.amdhsa_system_vgpr_workitem_id 0
		.amdhsa_next_free_vgpr 82
		.amdhsa_next_free_sgpr 18
		.amdhsa_reserve_vcc 1
		.amdhsa_float_round_mode_32 0
		.amdhsa_float_round_mode_16_64 0
		.amdhsa_float_denorm_mode_32 3
		.amdhsa_float_denorm_mode_16_64 3
		.amdhsa_fp16_overflow 0
		.amdhsa_workgroup_processor_mode 1
		.amdhsa_memory_ordered 1
		.amdhsa_forward_progress 0
		.amdhsa_round_robin_scheduling 0
		.amdhsa_exception_fp_ieee_invalid_op 0
		.amdhsa_exception_fp_denorm_src 0
		.amdhsa_exception_fp_ieee_div_zero 0
		.amdhsa_exception_fp_ieee_overflow 0
		.amdhsa_exception_fp_ieee_underflow 0
		.amdhsa_exception_fp_ieee_inexact 0
		.amdhsa_exception_int_div_zero 0
	.end_amdhsa_kernel
	.text
.Lfunc_end0:
	.size	bluestein_single_back_len98_dim1_sp_op_CI_CI, .Lfunc_end0-bluestein_single_back_len98_dim1_sp_op_CI_CI
                                        ; -- End function
	.section	.AMDGPU.csdata,"",@progbits
; Kernel info:
; codeLenInByte = 6040
; NumSgprs: 20
; NumVgprs: 82
; ScratchSize: 0
; MemoryBound: 0
; FloatMode: 240
; IeeeMode: 1
; LDSByteSize: 14112 bytes/workgroup (compile time only)
; SGPRBlocks: 2
; VGPRBlocks: 10
; NumSGPRsForWavesPerEU: 20
; NumVGPRsForWavesPerEU: 82
; Occupancy: 16
; WaveLimiterHint : 1
; COMPUTE_PGM_RSRC2:SCRATCH_EN: 0
; COMPUTE_PGM_RSRC2:USER_SGPR: 2
; COMPUTE_PGM_RSRC2:TRAP_HANDLER: 0
; COMPUTE_PGM_RSRC2:TGID_X_EN: 1
; COMPUTE_PGM_RSRC2:TGID_Y_EN: 0
; COMPUTE_PGM_RSRC2:TGID_Z_EN: 0
; COMPUTE_PGM_RSRC2:TIDIG_COMP_CNT: 0
	.text
	.p2alignl 7, 3214868480
	.fill 96, 4, 3214868480
	.type	__hip_cuid_cb5d7071281b8782,@object ; @__hip_cuid_cb5d7071281b8782
	.section	.bss,"aw",@nobits
	.globl	__hip_cuid_cb5d7071281b8782
__hip_cuid_cb5d7071281b8782:
	.byte	0                               ; 0x0
	.size	__hip_cuid_cb5d7071281b8782, 1

	.ident	"AMD clang version 19.0.0git (https://github.com/RadeonOpenCompute/llvm-project roc-6.4.0 25133 c7fe45cf4b819c5991fe208aaa96edf142730f1d)"
	.section	".note.GNU-stack","",@progbits
	.addrsig
	.addrsig_sym __hip_cuid_cb5d7071281b8782
	.amdgpu_metadata
---
amdhsa.kernels:
  - .args:
      - .actual_access:  read_only
        .address_space:  global
        .offset:         0
        .size:           8
        .value_kind:     global_buffer
      - .actual_access:  read_only
        .address_space:  global
        .offset:         8
        .size:           8
        .value_kind:     global_buffer
      - .actual_access:  read_only
        .address_space:  global
        .offset:         16
        .size:           8
        .value_kind:     global_buffer
      - .actual_access:  read_only
        .address_space:  global
        .offset:         24
        .size:           8
        .value_kind:     global_buffer
      - .actual_access:  read_only
        .address_space:  global
        .offset:         32
        .size:           8
        .value_kind:     global_buffer
      - .offset:         40
        .size:           8
        .value_kind:     by_value
      - .address_space:  global
        .offset:         48
        .size:           8
        .value_kind:     global_buffer
      - .address_space:  global
        .offset:         56
        .size:           8
        .value_kind:     global_buffer
      - .address_space:  global
        .offset:         64
        .size:           8
        .value_kind:     global_buffer
      - .address_space:  global
        .offset:         72
        .size:           8
        .value_kind:     global_buffer
      - .offset:         80
        .size:           4
        .value_kind:     by_value
      - .address_space:  global
        .offset:         88
        .size:           8
        .value_kind:     global_buffer
      - .address_space:  global
        .offset:         96
        .size:           8
        .value_kind:     global_buffer
    .group_segment_fixed_size: 14112
    .kernarg_segment_align: 8
    .kernarg_segment_size: 104
    .language:       OpenCL C
    .language_version:
      - 2
      - 0
    .max_flat_workgroup_size: 252
    .name:           bluestein_single_back_len98_dim1_sp_op_CI_CI
    .private_segment_fixed_size: 0
    .sgpr_count:     20
    .sgpr_spill_count: 0
    .symbol:         bluestein_single_back_len98_dim1_sp_op_CI_CI.kd
    .uniform_work_group_size: 1
    .uses_dynamic_stack: false
    .vgpr_count:     82
    .vgpr_spill_count: 0
    .wavefront_size: 32
    .workgroup_processor_mode: 1
amdhsa.target:   amdgcn-amd-amdhsa--gfx1201
amdhsa.version:
  - 1
  - 2
...

	.end_amdgpu_metadata
